;; amdgpu-corpus repo=ROCm/rocFFT kind=compiled arch=gfx1030 opt=O3
	.text
	.amdgcn_target "amdgcn-amd-amdhsa--gfx1030"
	.amdhsa_code_object_version 6
	.protected	fft_rtc_fwd_len147_factors_7_7_3_wgs_63_tpt_21_sp_op_CI_CI_sbrr_dirReg ; -- Begin function fft_rtc_fwd_len147_factors_7_7_3_wgs_63_tpt_21_sp_op_CI_CI_sbrr_dirReg
	.globl	fft_rtc_fwd_len147_factors_7_7_3_wgs_63_tpt_21_sp_op_CI_CI_sbrr_dirReg
	.p2align	8
	.type	fft_rtc_fwd_len147_factors_7_7_3_wgs_63_tpt_21_sp_op_CI_CI_sbrr_dirReg,@function
fft_rtc_fwd_len147_factors_7_7_3_wgs_63_tpt_21_sp_op_CI_CI_sbrr_dirReg: ; @fft_rtc_fwd_len147_factors_7_7_3_wgs_63_tpt_21_sp_op_CI_CI_sbrr_dirReg
; %bb.0:
	s_clause 0x1
	s_load_dwordx4 s[16:19], s[4:5], 0x18
	s_load_dwordx4 s[12:15], s[4:5], 0x0
	v_mul_u32_u24_e32 v1, 0xc31, v0
	v_mov_b32_e32 v5, 0
	s_load_dwordx4 s[8:11], s[4:5], 0x58
	s_waitcnt lgkmcnt(0)
	s_load_dwordx2 s[20:21], s[16:17], 0x0
	s_load_dwordx2 s[2:3], s[18:19], 0x0
	v_lshrrev_b32_e32 v1, 16, v1
	v_cmp_lt_u64_e64 s0, s[14:15], 2
	v_mad_u64_u32 v[3:4], null, s6, 3, v[1:2]
	v_mov_b32_e32 v1, 0
	v_mov_b32_e32 v2, 0
	;; [unrolled: 1-line block ×3, first 2 shown]
	s_and_b32 vcc_lo, exec_lo, s0
	v_mov_b32_e32 v13, v2
	v_mov_b32_e32 v15, v4
	;; [unrolled: 1-line block ×4, first 2 shown]
	s_cbranch_vccnz .LBB0_8
; %bb.1:
	s_load_dwordx2 s[0:1], s[4:5], 0x10
	v_mov_b32_e32 v1, 0
	v_mov_b32_e32 v2, 0
	s_add_u32 s6, s18, 8
	v_mov_b32_e32 v8, v4
	s_addc_u32 s7, s19, 0
	v_mov_b32_e32 v7, v3
	v_mov_b32_e32 v13, v2
	s_add_u32 s22, s16, 8
	v_mov_b32_e32 v12, v1
	s_addc_u32 s23, s17, 0
	s_mov_b64 s[26:27], 1
	s_waitcnt lgkmcnt(0)
	s_add_u32 s24, s0, 8
	s_addc_u32 s25, s1, 0
.LBB0_2:                                ; =>This Inner Loop Header: Depth=1
	s_load_dwordx2 s[28:29], s[24:25], 0x0
                                        ; implicit-def: $vgpr14_vgpr15
	s_mov_b32 s0, exec_lo
	s_waitcnt lgkmcnt(0)
	v_or_b32_e32 v6, s29, v8
	v_cmpx_ne_u64_e32 0, v[5:6]
	s_xor_b32 s1, exec_lo, s0
	s_cbranch_execz .LBB0_4
; %bb.3:                                ;   in Loop: Header=BB0_2 Depth=1
	v_cvt_f32_u32_e32 v4, s28
	v_cvt_f32_u32_e32 v6, s29
	s_sub_u32 s0, 0, s28
	s_subb_u32 s30, 0, s29
	v_fmac_f32_e32 v4, 0x4f800000, v6
	v_rcp_f32_e32 v4, v4
	v_mul_f32_e32 v4, 0x5f7ffffc, v4
	v_mul_f32_e32 v6, 0x2f800000, v4
	v_trunc_f32_e32 v6, v6
	v_fmac_f32_e32 v4, 0xcf800000, v6
	v_cvt_u32_f32_e32 v6, v6
	v_cvt_u32_f32_e32 v4, v4
	v_mul_lo_u32 v9, s0, v6
	v_mul_hi_u32 v10, s0, v4
	v_mul_lo_u32 v11, s30, v4
	v_add_nc_u32_e32 v9, v10, v9
	v_mul_lo_u32 v10, s0, v4
	v_add_nc_u32_e32 v9, v9, v11
	v_mul_hi_u32 v11, v4, v10
	v_mul_lo_u32 v14, v4, v9
	v_mul_hi_u32 v15, v4, v9
	v_mul_hi_u32 v16, v6, v10
	v_mul_lo_u32 v10, v6, v10
	v_mul_hi_u32 v17, v6, v9
	v_mul_lo_u32 v9, v6, v9
	v_add_co_u32 v11, vcc_lo, v11, v14
	v_add_co_ci_u32_e32 v14, vcc_lo, 0, v15, vcc_lo
	v_add_co_u32 v10, vcc_lo, v11, v10
	v_add_co_ci_u32_e32 v10, vcc_lo, v14, v16, vcc_lo
	v_add_co_ci_u32_e32 v11, vcc_lo, 0, v17, vcc_lo
	v_add_co_u32 v9, vcc_lo, v10, v9
	v_add_co_ci_u32_e32 v10, vcc_lo, 0, v11, vcc_lo
	v_add_co_u32 v4, vcc_lo, v4, v9
	v_add_co_ci_u32_e32 v6, vcc_lo, v6, v10, vcc_lo
	v_mul_hi_u32 v9, s0, v4
	v_mul_lo_u32 v11, s30, v4
	v_mul_lo_u32 v10, s0, v6
	v_add_nc_u32_e32 v9, v9, v10
	v_mul_lo_u32 v10, s0, v4
	v_add_nc_u32_e32 v9, v9, v11
	v_mul_hi_u32 v11, v4, v10
	v_mul_lo_u32 v14, v4, v9
	v_mul_hi_u32 v15, v4, v9
	v_mul_hi_u32 v16, v6, v10
	v_mul_lo_u32 v10, v6, v10
	v_mul_hi_u32 v17, v6, v9
	v_mul_lo_u32 v9, v6, v9
	v_add_co_u32 v11, vcc_lo, v11, v14
	v_add_co_ci_u32_e32 v14, vcc_lo, 0, v15, vcc_lo
	v_add_co_u32 v10, vcc_lo, v11, v10
	v_add_co_ci_u32_e32 v10, vcc_lo, v14, v16, vcc_lo
	v_add_co_ci_u32_e32 v11, vcc_lo, 0, v17, vcc_lo
	v_add_co_u32 v9, vcc_lo, v10, v9
	v_add_co_ci_u32_e32 v10, vcc_lo, 0, v11, vcc_lo
	v_add_co_u32 v4, vcc_lo, v4, v9
	v_add_co_ci_u32_e32 v6, vcc_lo, v6, v10, vcc_lo
	v_mul_hi_u32 v11, v7, v4
	v_mad_u64_u32 v[14:15], null, v8, v4, 0
	v_mad_u64_u32 v[9:10], null, v7, v6, 0
	v_mad_u64_u32 v[16:17], null, v8, v6, 0
	v_add_co_u32 v4, vcc_lo, v11, v9
	v_add_co_ci_u32_e32 v6, vcc_lo, 0, v10, vcc_lo
	v_add_co_u32 v4, vcc_lo, v4, v14
	v_add_co_ci_u32_e32 v4, vcc_lo, v6, v15, vcc_lo
	v_add_co_ci_u32_e32 v6, vcc_lo, 0, v17, vcc_lo
	v_add_co_u32 v4, vcc_lo, v4, v16
	v_add_co_ci_u32_e32 v6, vcc_lo, 0, v6, vcc_lo
	v_mul_lo_u32 v11, s29, v4
	v_mad_u64_u32 v[9:10], null, s28, v4, 0
	v_mul_lo_u32 v14, s28, v6
	v_sub_co_u32 v9, vcc_lo, v7, v9
	v_add3_u32 v10, v10, v14, v11
	v_sub_nc_u32_e32 v11, v8, v10
	v_subrev_co_ci_u32_e64 v11, s0, s29, v11, vcc_lo
	v_add_co_u32 v14, s0, v4, 2
	v_add_co_ci_u32_e64 v15, s0, 0, v6, s0
	v_sub_co_u32 v16, s0, v9, s28
	v_sub_co_ci_u32_e32 v10, vcc_lo, v8, v10, vcc_lo
	v_subrev_co_ci_u32_e64 v11, s0, 0, v11, s0
	v_cmp_le_u32_e32 vcc_lo, s28, v16
	v_cmp_eq_u32_e64 s0, s29, v10
	v_cndmask_b32_e64 v16, 0, -1, vcc_lo
	v_cmp_le_u32_e32 vcc_lo, s29, v11
	v_cndmask_b32_e64 v17, 0, -1, vcc_lo
	v_cmp_le_u32_e32 vcc_lo, s28, v9
	;; [unrolled: 2-line block ×3, first 2 shown]
	v_cndmask_b32_e64 v18, 0, -1, vcc_lo
	v_cmp_eq_u32_e32 vcc_lo, s29, v11
	v_cndmask_b32_e64 v9, v18, v9, s0
	v_cndmask_b32_e32 v11, v17, v16, vcc_lo
	v_add_co_u32 v16, vcc_lo, v4, 1
	v_add_co_ci_u32_e32 v17, vcc_lo, 0, v6, vcc_lo
	v_cmp_ne_u32_e32 vcc_lo, 0, v11
	v_cndmask_b32_e32 v10, v17, v15, vcc_lo
	v_cndmask_b32_e32 v11, v16, v14, vcc_lo
	v_cmp_ne_u32_e32 vcc_lo, 0, v9
	v_cndmask_b32_e32 v15, v6, v10, vcc_lo
	v_cndmask_b32_e32 v14, v4, v11, vcc_lo
.LBB0_4:                                ;   in Loop: Header=BB0_2 Depth=1
	s_andn2_saveexec_b32 s0, s1
	s_cbranch_execz .LBB0_6
; %bb.5:                                ;   in Loop: Header=BB0_2 Depth=1
	v_cvt_f32_u32_e32 v4, s28
	s_sub_i32 s1, 0, s28
	v_mov_b32_e32 v15, v5
	v_rcp_iflag_f32_e32 v4, v4
	v_mul_f32_e32 v4, 0x4f7ffffe, v4
	v_cvt_u32_f32_e32 v4, v4
	v_mul_lo_u32 v6, s1, v4
	v_mul_hi_u32 v6, v4, v6
	v_add_nc_u32_e32 v4, v4, v6
	v_mul_hi_u32 v4, v7, v4
	v_mul_lo_u32 v6, v4, s28
	v_add_nc_u32_e32 v9, 1, v4
	v_sub_nc_u32_e32 v6, v7, v6
	v_subrev_nc_u32_e32 v10, s28, v6
	v_cmp_le_u32_e32 vcc_lo, s28, v6
	v_cndmask_b32_e32 v6, v6, v10, vcc_lo
	v_cndmask_b32_e32 v4, v4, v9, vcc_lo
	v_cmp_le_u32_e32 vcc_lo, s28, v6
	v_add_nc_u32_e32 v9, 1, v4
	v_cndmask_b32_e32 v14, v4, v9, vcc_lo
.LBB0_6:                                ;   in Loop: Header=BB0_2 Depth=1
	s_or_b32 exec_lo, exec_lo, s0
	v_mul_lo_u32 v4, v15, s28
	v_mul_lo_u32 v6, v14, s29
	s_load_dwordx2 s[0:1], s[22:23], 0x0
	v_mad_u64_u32 v[9:10], null, v14, s28, 0
	s_load_dwordx2 s[28:29], s[6:7], 0x0
	s_add_u32 s26, s26, 1
	s_addc_u32 s27, s27, 0
	s_add_u32 s6, s6, 8
	s_addc_u32 s7, s7, 0
	s_add_u32 s22, s22, 8
	v_add3_u32 v4, v10, v6, v4
	v_sub_co_u32 v6, vcc_lo, v7, v9
	s_addc_u32 s23, s23, 0
	s_add_u32 s24, s24, 8
	v_sub_co_ci_u32_e32 v4, vcc_lo, v8, v4, vcc_lo
	s_addc_u32 s25, s25, 0
	s_waitcnt lgkmcnt(0)
	v_mul_lo_u32 v7, s0, v4
	v_mul_lo_u32 v8, s1, v6
	v_mad_u64_u32 v[1:2], null, s0, v6, v[1:2]
	v_mul_lo_u32 v4, s28, v4
	v_mul_lo_u32 v9, s29, v6
	v_mad_u64_u32 v[12:13], null, s28, v6, v[12:13]
	v_cmp_ge_u64_e64 s0, s[26:27], s[14:15]
	v_add3_u32 v2, v8, v2, v7
	v_add3_u32 v13, v9, v13, v4
	s_and_b32 vcc_lo, exec_lo, s0
	s_cbranch_vccnz .LBB0_8
; %bb.7:                                ;   in Loop: Header=BB0_2 Depth=1
	v_mov_b32_e32 v7, v14
	v_mov_b32_e32 v8, v15
	s_branch .LBB0_2
.LBB0_8:
	s_load_dwordx2 s[0:1], s[4:5], 0x28
	v_mul_hi_u32 v4, 0xaaaaaaab, v3
	s_lshl_b64 s[6:7], s[14:15], 3
                                        ; implicit-def: $vgpr24
                                        ; implicit-def: $vgpr27
                                        ; implicit-def: $vgpr25
	s_add_u32 s4, s18, s6
	s_addc_u32 s5, s19, s7
	v_lshrrev_b32_e32 v4, 1, v4
	v_lshl_add_u32 v5, v4, 1, v4
	v_mul_hi_u32 v4, 0xc30c30d, v0
	v_sub_nc_u32_e32 v3, v3, v5
	s_waitcnt lgkmcnt(0)
	v_cmp_gt_u64_e32 vcc_lo, s[0:1], v[14:15]
	v_cmp_le_u64_e64 s0, s[0:1], v[14:15]
	s_and_saveexec_b32 s1, s0
	s_xor_b32 s0, exec_lo, s1
; %bb.9:
	v_mul_u32_u24_e32 v1, 21, v4
                                        ; implicit-def: $vgpr4
	v_sub_nc_u32_e32 v24, v0, v1
                                        ; implicit-def: $vgpr0
                                        ; implicit-def: $vgpr1_vgpr2
	v_add_nc_u32_e32 v27, 21, v24
	v_add_nc_u32_e32 v25, 42, v24
; %bb.10:
	s_or_saveexec_b32 s1, s0
	v_mul_u32_u24_e32 v3, 0x93, v3
	v_lshlrev_b32_e32 v3, 3, v3
	s_xor_b32 exec_lo, exec_lo, s1
	s_cbranch_execz .LBB0_12
; %bb.11:
	s_add_u32 s6, s16, s6
	s_addc_u32 s7, s17, s7
	v_mul_u32_u24_e32 v4, 21, v4
	s_load_dwordx2 s[6:7], s[6:7], 0x0
	v_sub_nc_u32_e32 v24, v0, v4
	v_lshlrev_b64 v[0:1], 3, v[1:2]
	v_mad_u64_u32 v[4:5], null, s20, v24, 0
	v_add_nc_u32_e32 v27, 21, v24
	v_add_nc_u32_e32 v25, 42, v24
	;; [unrolled: 1-line block ×4, first 2 shown]
	v_mad_u64_u32 v[6:7], null, s20, v27, 0
	v_mov_b32_e32 v2, v5
	v_mad_u64_u32 v[8:9], null, s20, v25, 0
	s_waitcnt lgkmcnt(0)
	v_mul_lo_u32 v5, s7, v14
	v_mul_lo_u32 v19, s6, v15
	v_mad_u64_u32 v[10:11], null, s6, v14, 0
	v_mad_u64_u32 v[16:17], null, s21, v24, v[2:3]
	v_mov_b32_e32 v2, v7
	v_mad_u64_u32 v[17:18], null, s20, v26, 0
	v_mov_b32_e32 v7, v9
	v_add3_u32 v11, v11, v19, v5
	v_mad_u64_u32 v[19:20], null, s21, v27, v[2:3]
	v_mad_u64_u32 v[20:21], null, s20, v28, 0
	v_lshlrev_b64 v[9:10], 3, v[10:11]
	v_mad_u64_u32 v[22:23], null, s21, v25, v[7:8]
	v_mov_b32_e32 v2, v18
	v_mov_b32_e32 v7, v19
	;; [unrolled: 1-line block ×3, first 2 shown]
	v_add_co_u32 v11, s0, s8, v9
	v_add_co_ci_u32_e64 v10, s0, s9, v10, s0
	v_add_nc_u32_e32 v16, 0x69, v24
	v_add_co_u32 v30, s0, v11, v0
	v_add_co_ci_u32_e64 v31, s0, v10, v1, s0
	v_lshlrev_b64 v[0:1], 3, v[6:7]
	v_mad_u64_u32 v[6:7], null, s21, v26, v[2:3]
	v_mov_b32_e32 v2, v21
	v_add_nc_u32_e32 v19, 0x7e, v24
	v_mad_u64_u32 v[10:11], null, s20, v16, 0
	v_lshlrev_b64 v[4:5], 3, v[4:5]
	v_mov_b32_e32 v9, v22
	v_mad_u64_u32 v[21:22], null, s21, v28, v[2:3]
	v_mad_u64_u32 v[22:23], null, s20, v19, 0
	v_mov_b32_e32 v2, v11
	v_add_co_u32 v4, s0, v30, v4
	v_lshlrev_b64 v[7:8], 3, v[8:9]
	v_add_co_ci_u32_e64 v5, s0, v31, v5, s0
	v_add_co_u32 v0, s0, v30, v0
	v_mov_b32_e32 v18, v6
	v_mad_u64_u32 v[28:29], null, s21, v16, v[2:3]
	v_mov_b32_e32 v2, v23
	v_add_co_ci_u32_e64 v1, s0, v31, v1, s0
	v_add_co_u32 v6, s0, v30, v7
	v_add_co_ci_u32_e64 v7, s0, v31, v8, s0
	v_lshlrev_b64 v[8:9], 3, v[17:18]
	v_mad_u64_u32 v[16:17], null, s21, v19, v[2:3]
	v_lshlrev_b64 v[17:18], 3, v[20:21]
	v_mov_b32_e32 v11, v28
	v_lshlrev_b32_e32 v2, 3, v24
	v_add_co_u32 v8, s0, v30, v8
	v_add_co_ci_u32_e64 v9, s0, v31, v9, s0
	v_mov_b32_e32 v23, v16
	v_lshlrev_b64 v[10:11], 3, v[10:11]
	v_add_co_u32 v16, s0, v30, v17
	v_add_co_ci_u32_e64 v17, s0, v31, v18, s0
	v_lshlrev_b64 v[18:19], 3, v[22:23]
	v_add_co_u32 v10, s0, v30, v10
	v_add_co_ci_u32_e64 v11, s0, v31, v11, s0
	v_add3_u32 v2, 0, v3, v2
	v_add_co_u32 v18, s0, v30, v18
	v_add_co_ci_u32_e64 v19, s0, v31, v19, s0
	s_clause 0x6
	global_load_dwordx2 v[4:5], v[4:5], off
	global_load_dwordx2 v[0:1], v[0:1], off
	global_load_dwordx2 v[6:7], v[6:7], off
	global_load_dwordx2 v[8:9], v[8:9], off
	global_load_dwordx2 v[16:17], v[16:17], off
	global_load_dwordx2 v[10:11], v[10:11], off
	global_load_dwordx2 v[18:19], v[18:19], off
	s_waitcnt vmcnt(5)
	ds_write2_b64 v2, v[4:5], v[0:1] offset1:21
	s_waitcnt vmcnt(3)
	ds_write2_b64 v2, v[6:7], v[8:9] offset0:42 offset1:63
	s_waitcnt vmcnt(1)
	ds_write2_b64 v2, v[16:17], v[10:11] offset0:84 offset1:105
	s_waitcnt vmcnt(0)
	ds_write_b64 v2, v[18:19] offset:1008
.LBB0_12:
	s_or_b32 exec_lo, exec_lo, s1
	v_lshlrev_b32_e32 v0, 3, v24
	s_load_dwordx2 s[4:5], s[4:5], 0x0
	s_waitcnt lgkmcnt(0)
	s_barrier
	buffer_gl0_inv
	v_add3_u32 v28, 0, v0, v3
	v_add_nc_u32_e32 v26, 0, v3
	v_and_b32_e32 v32, 0xff, v24
	v_mov_b32_e32 v39, 3
	v_cmp_gt_u32_e64 s0, 7, v24
	ds_read2_b64 v[4:7], v28 offset0:21 offset1:42
	ds_read2_b64 v[8:11], v28 offset0:105 offset1:126
	;; [unrolled: 1-line block ×3, first 2 shown]
	v_add_nc_u32_e32 v38, v26, v0
	v_mul_lo_u16 v32, v32, 37
	ds_read_b64 v[0:1], v38
	s_waitcnt lgkmcnt(0)
	s_barrier
	buffer_gl0_inv
	v_add_f32_e32 v2, v4, v10
	v_add_f32_e32 v20, v5, v11
	v_sub_f32_e32 v4, v4, v10
	v_sub_f32_e32 v5, v5, v11
	v_add_f32_e32 v10, v6, v8
	v_add_f32_e32 v11, v7, v9
	v_sub_f32_e32 v7, v7, v9
	v_add_f32_e32 v9, v17, v19
	v_sub_f32_e32 v6, v6, v8
	;; [unrolled: 2-line block ×3, first 2 shown]
	v_sub_f32_e32 v17, v19, v17
	v_add_f32_e32 v18, v10, v2
	v_add_f32_e32 v19, v11, v20
	v_sub_f32_e32 v22, v11, v20
	v_sub_f32_e32 v20, v20, v9
	;; [unrolled: 1-line block ×6, first 2 shown]
	v_add_f32_e32 v23, v16, v6
	v_sub_f32_e32 v30, v16, v6
	v_add_f32_e32 v8, v8, v18
	v_mul_f32_e32 v18, 0x3f4a47b2, v20
	v_mul_f32_e32 v20, 0x3d64c772, v11
	v_sub_f32_e32 v16, v4, v16
	v_sub_f32_e32 v6, v6, v4
	v_add_f32_e32 v9, v9, v19
	v_add_f32_e32 v4, v23, v4
	v_mul_f32_e32 v2, 0x3f4a47b2, v2
	v_mul_f32_e32 v19, 0x3d64c772, v10
	;; [unrolled: 1-line block ×3, first 2 shown]
	v_fmamk_f32 v11, v11, 0x3d64c772, v18
	v_fma_f32 v20, 0x3f3bfb3b, v22, -v20
	v_fma_f32 v18, 0xbf3bfb3b, v22, -v18
	v_lshrrev_b16 v22, 8, v32
	v_mul_f32_e32 v30, 0x3f5ff5aa, v6
	v_fmamk_f32 v10, v10, 0x3d64c772, v2
	v_fma_f32 v19, 0x3f3bfb3b, v21, -v19
	v_fma_f32 v2, 0xbf3bfb3b, v21, -v2
	v_fmamk_f32 v21, v16, 0x3eae86e6, v23
	v_fma_f32 v23, 0x3f5ff5aa, v6, -v23
	v_sub_nc_u16 v6, v24, v22
	v_add_f32_e32 v29, v17, v7
	v_sub_f32_e32 v31, v17, v7
	v_sub_f32_e32 v17, v5, v17
	;; [unrolled: 1-line block ×3, first 2 shown]
	v_lshrrev_b16 v6, 1, v6
	v_add_f32_e32 v5, v29, v5
	v_mul_f32_e32 v29, 0xbf08b237, v31
	v_add_f32_e32 v0, v0, v8
	v_mul_f32_e32 v31, 0x3f5ff5aa, v7
	v_and_b32_e32 v6, 0x7f, v6
	v_add_f32_e32 v1, v1, v9
	v_fmamk_f32 v32, v17, 0x3eae86e6, v29
	v_fma_f32 v29, 0x3f5ff5aa, v7, -v29
	v_fmamk_f32 v8, v8, 0xbf955555, v0
	v_add_nc_u16 v7, v6, v22
	v_fma_f32 v30, 0xbeae86e6, v16, -v30
	v_fma_f32 v16, 0xbeae86e6, v17, -v31
	v_fmamk_f32 v9, v9, 0xbf955555, v1
	v_add_f32_e32 v31, v10, v8
	v_lshrrev_b16 v36, 2, v7
	v_add_f32_e32 v10, v19, v8
	v_add_f32_e32 v2, v2, v8
	v_fmac_f32_e32 v16, 0x3ee1c552, v5
	v_add_f32_e32 v33, v11, v9
	v_mul_lo_u16 v19, v36, 7
	v_fmac_f32_e32 v21, 0x3ee1c552, v4
	v_fmac_f32_e32 v32, 0x3ee1c552, v5
	v_add_f32_e32 v6, v16, v2
	v_sub_f32_e32 v16, v2, v16
	v_sub_nc_u16 v37, v24, v19
	v_mov_b32_e32 v2, 6
	v_add_f32_e32 v11, v20, v9
	v_add_f32_e32 v17, v18, v9
	v_fmac_f32_e32 v23, 0x3ee1c552, v4
	v_fmac_f32_e32 v29, 0x3ee1c552, v5
	;; [unrolled: 1-line block ×3, first 2 shown]
	v_add_f32_e32 v4, v31, v32
	v_sub_f32_e32 v5, v33, v21
	v_mad_u32_u24 v20, v24, 48, v28
	v_mul_u32_u24_sdwa v2, v37, v2 dst_sel:DWORD dst_unused:UNUSED_PAD src0_sel:BYTE_0 src1_sel:DWORD
	v_sub_f32_e32 v7, v17, v30
	v_sub_f32_e32 v8, v10, v29
	v_add_f32_e32 v9, v23, v11
	v_add_f32_e32 v10, v29, v10
	v_sub_f32_e32 v11, v11, v23
	v_add_f32_e32 v17, v30, v17
	v_sub_f32_e32 v18, v31, v32
	v_add_f32_e32 v19, v21, v33
	ds_write2_b64 v20, v[0:1], v[4:5] offset1:1
	ds_write2_b64 v20, v[6:7], v[8:9] offset0:2 offset1:3
	ds_write2_b64 v20, v[10:11], v[16:17] offset0:4 offset1:5
	v_lshlrev_b32_e32 v0, 3, v2
	v_lshl_add_u32 v29, v27, 3, v26
	v_and_b32_e32 v36, 0xffff, v36
	ds_write_b64 v20, v[18:19] offset:48
	s_waitcnt lgkmcnt(0)
	s_barrier
	buffer_gl0_inv
	s_clause 0x2
	global_load_dwordx4 v[4:7], v0, s[12:13]
	global_load_dwordx4 v[8:11], v0, s[12:13] offset:16
	global_load_dwordx4 v[16:19], v0, s[12:13] offset:32
	v_lshl_add_u32 v0, v25, 3, v26
	ds_read_b64 v[1:2], v29
	ds_read_b64 v[34:35], v0
	ds_read2_b64 v[20:23], v28 offset0:63 offset1:84
	ds_read2_b64 v[30:33], v28 offset0:105 offset1:126
	v_mad_u32_u24 v40, 0x188, v36, 0
	v_lshlrev_b32_sdwa v39, v39, v37 dst_sel:DWORD dst_unused:UNUSED_PAD src0_sel:DWORD src1_sel:BYTE_0
	ds_read_b64 v[36:37], v38
	s_waitcnt vmcnt(0) lgkmcnt(0)
	s_barrier
	buffer_gl0_inv
	v_add3_u32 v39, v40, v39, v3
	v_mul_f32_e32 v3, v5, v2
	v_mul_f32_e32 v5, v5, v1
	;; [unrolled: 1-line block ×12, first 2 shown]
	v_fma_f32 v1, v4, v1, -v3
	v_fmac_f32_e32 v5, v4, v2
	v_fma_f32 v2, v6, v34, -v40
	v_fmac_f32_e32 v7, v6, v35
	v_fma_f32 v3, v8, v20, -v41
	v_fmac_f32_e32 v9, v8, v21
	v_fma_f32 v6, v18, v32, -v44
	v_fmac_f32_e32 v19, v18, v33
	v_fma_f32 v8, v16, v30, -v43
	v_fmac_f32_e32 v17, v16, v31
	v_fma_f32 v4, v10, v22, -v42
	v_fmac_f32_e32 v11, v10, v23
	v_add_f32_e32 v10, v1, v6
	v_add_f32_e32 v16, v5, v19
	v_sub_f32_e32 v1, v1, v6
	v_add_f32_e32 v6, v2, v8
	v_add_f32_e32 v18, v7, v17
	v_sub_f32_e32 v5, v5, v19
	v_sub_f32_e32 v2, v2, v8
	;; [unrolled: 1-line block ×3, first 2 shown]
	v_add_f32_e32 v8, v3, v4
	v_add_f32_e32 v17, v9, v11
	v_sub_f32_e32 v3, v4, v3
	v_sub_f32_e32 v4, v11, v9
	v_add_f32_e32 v9, v6, v10
	v_add_f32_e32 v11, v18, v16
	v_sub_f32_e32 v19, v6, v10
	v_sub_f32_e32 v20, v18, v16
	;; [unrolled: 1-line block ×6, first 2 shown]
	v_add_f32_e32 v21, v3, v2
	v_add_f32_e32 v22, v4, v7
	v_sub_f32_e32 v23, v3, v2
	v_sub_f32_e32 v30, v4, v7
	;; [unrolled: 1-line block ×4, first 2 shown]
	v_add_f32_e32 v8, v8, v9
	v_add_f32_e32 v9, v17, v11
	v_sub_f32_e32 v3, v1, v3
	v_sub_f32_e32 v4, v5, v4
	v_add_f32_e32 v11, v21, v1
	v_add_f32_e32 v5, v22, v5
	v_mul_f32_e32 v10, 0x3f4a47b2, v10
	v_mul_f32_e32 v16, 0x3f4a47b2, v16
	;; [unrolled: 1-line block ×8, first 2 shown]
	v_add_f32_e32 v1, v8, v36
	v_add_f32_e32 v2, v9, v37
	v_fmamk_f32 v6, v6, 0x3d64c772, v10
	v_fmamk_f32 v18, v18, 0x3d64c772, v16
	v_fma_f32 v17, 0x3f3bfb3b, v19, -v17
	v_fma_f32 v21, 0x3f3bfb3b, v20, -v21
	;; [unrolled: 1-line block ×4, first 2 shown]
	v_fmamk_f32 v20, v3, 0x3eae86e6, v22
	v_fmamk_f32 v33, v4, 0x3eae86e6, v23
	v_fma_f32 v19, 0x3f5ff5aa, v31, -v22
	v_fma_f32 v22, 0x3f5ff5aa, v7, -v23
	v_fma_f32 v23, 0xbeae86e6, v3, -v30
	v_fma_f32 v30, 0xbeae86e6, v4, -v32
	v_fmamk_f32 v3, v8, 0xbf955555, v1
	v_fmamk_f32 v4, v9, 0xbf955555, v2
	v_fmac_f32_e32 v20, 0x3ee1c552, v11
	v_fmac_f32_e32 v33, 0x3ee1c552, v5
	;; [unrolled: 1-line block ×4, first 2 shown]
	v_add_f32_e32 v11, v6, v3
	v_add_f32_e32 v31, v18, v4
	v_fmac_f32_e32 v22, 0x3ee1c552, v5
	v_fmac_f32_e32 v30, 0x3ee1c552, v5
	v_add_f32_e32 v9, v17, v3
	v_add_f32_e32 v17, v10, v3
	;; [unrolled: 1-line block ×5, first 2 shown]
	v_sub_f32_e32 v4, v31, v20
	v_add_f32_e32 v5, v30, v17
	v_sub_f32_e32 v6, v16, v23
	v_sub_f32_e32 v7, v9, v22
	v_add_f32_e32 v8, v19, v10
	v_add_f32_e32 v9, v22, v9
	v_sub_f32_e32 v10, v10, v19
	v_sub_f32_e32 v18, v17, v30
	v_add_f32_e32 v19, v23, v16
	v_sub_f32_e32 v16, v11, v33
	v_add_f32_e32 v17, v20, v31
	ds_write2_b64 v39, v[1:2], v[3:4] offset1:7
	ds_write2_b64 v39, v[5:6], v[7:8] offset0:14 offset1:21
	ds_write2_b64 v39, v[9:10], v[18:19] offset0:28 offset1:35
	ds_write_b64 v39, v[16:17] offset:336
	s_waitcnt lgkmcnt(0)
	s_barrier
	buffer_gl0_inv
	ds_read2_b64 v[4:7], v28 offset0:49 offset1:70
	ds_read_b64 v[20:21], v38
	ds_read_b64 v[18:19], v29
	s_waitcnt lgkmcnt(1)
	ds_read_b32 v21, v38 offset:4
	ds_read2_b64 v[8:11], v28 offset0:98 offset1:119
                                        ; implicit-def: $vgpr3
	s_and_saveexec_b32 s1, s0
	s_cbranch_execz .LBB0_14
; %bb.13:
	ds_read_b64 v[16:17], v0
	ds_read2_b64 v[0:3], v28 offset0:91 offset1:140
.LBB0_14:
	s_or_b32 exec_lo, exec_lo, s1
	v_lshlrev_b32_e32 v22, 1, v24
	v_mov_b32_e32 v23, 0
	v_lshlrev_b64 v[30:31], 3, v[22:23]
	v_lshlrev_b32_e32 v22, 1, v27
	v_lshlrev_b64 v[34:35], 3, v[22:23]
	v_add_co_u32 v30, s1, s12, v30
	v_add_co_ci_u32_e64 v31, s1, s13, v31, s1
	v_add_co_u32 v34, s1, s12, v34
	global_load_dwordx4 v[30:33], v[30:31], off offset:336
	v_add_co_ci_u32_e64 v35, s1, s13, v35, s1
	global_load_dwordx4 v[34:37], v[34:35], off offset:336
	s_waitcnt vmcnt(0) lgkmcnt(0)
	s_barrier
	buffer_gl0_inv
	v_mul_f32_e32 v22, v31, v5
	v_mul_f32_e32 v27, v31, v4
	;; [unrolled: 1-line block ×4, first 2 shown]
	v_fma_f32 v4, v30, v4, -v22
	v_fmac_f32_e32 v27, v30, v5
	v_fma_f32 v5, v32, v8, -v31
	v_mul_f32_e32 v8, v35, v7
	v_mul_f32_e32 v22, v35, v6
	;; [unrolled: 1-line block ×4, first 2 shown]
	v_fmac_f32_e32 v33, v32, v9
	v_fma_f32 v6, v34, v6, -v8
	v_fmac_f32_e32 v22, v34, v7
	v_fma_f32 v8, v36, v10, -v30
	v_fmac_f32_e32 v31, v36, v11
	v_add_f32_e32 v7, v4, v20
	v_sub_f32_e32 v10, v27, v33
	v_add_f32_e32 v11, v21, v27
	v_add_f32_e32 v27, v27, v33
	;; [unrolled: 1-line block ×3, first 2 shown]
	v_sub_f32_e32 v30, v4, v5
	v_add_f32_e32 v4, v7, v5
	v_add_f32_e32 v5, v11, v33
	v_fmac_f32_e32 v21, -0.5, v27
	v_add_f32_e32 v11, v6, v8
	v_sub_f32_e32 v27, v22, v31
	v_add_f32_e32 v32, v19, v22
	v_add_f32_e32 v22, v22, v31
	v_fmac_f32_e32 v20, -0.5, v9
	v_add_f32_e32 v9, v18, v6
	v_sub_f32_e32 v33, v6, v8
	v_fma_f32 v18, -0.5, v11, v18
	v_fmac_f32_e32 v19, -0.5, v22
	v_fmamk_f32 v6, v10, 0x3f5db3d7, v20
	v_fmamk_f32 v7, v30, 0xbf5db3d7, v21
	v_fmac_f32_e32 v20, 0xbf5db3d7, v10
	v_fmac_f32_e32 v21, 0x3f5db3d7, v30
	v_add_f32_e32 v8, v9, v8
	v_add_f32_e32 v9, v32, v31
	v_fmamk_f32 v10, v27, 0x3f5db3d7, v18
	v_fmamk_f32 v11, v33, 0xbf5db3d7, v19
	v_fmac_f32_e32 v18, 0xbf5db3d7, v27
	v_fmac_f32_e32 v19, 0x3f5db3d7, v33
	ds_write2_b64 v28, v[4:5], v[6:7] offset1:49
	ds_write_b64 v28, v[20:21] offset:784
	ds_write2_b64 v29, v[8:9], v[10:11] offset1:49
	ds_write_b64 v29, v[18:19] offset:784
	s_and_saveexec_b32 s1, s0
	s_cbranch_execz .LBB0_16
; %bb.15:
	v_add_nc_u32_e32 v4, -7, v24
	v_cndmask_b32_e64 v4, v4, v25, s0
	v_lshlrev_b32_e32 v22, 1, v4
	v_lshlrev_b64 v[4:5], 3, v[22:23]
	v_add_co_u32 v4, s0, s12, v4
	v_add_co_ci_u32_e64 v5, s0, s13, v5, s0
	global_load_dwordx4 v[4:7], v[4:5], off offset:336
	s_waitcnt vmcnt(0)
	v_mul_f32_e32 v8, v1, v5
	v_mul_f32_e32 v5, v0, v5
	;; [unrolled: 1-line block ×4, first 2 shown]
	v_fma_f32 v0, v0, v4, -v8
	v_fmac_f32_e32 v5, v1, v4
	v_fmac_f32_e32 v9, v3, v6
	v_fma_f32 v2, v2, v6, -v7
	v_add_f32_e32 v7, v16, v0
	v_add_f32_e32 v6, v17, v5
	;; [unrolled: 1-line block ×4, first 2 shown]
	v_sub_f32_e32 v4, v0, v2
	v_sub_f32_e32 v8, v5, v9
	v_add_f32_e32 v2, v7, v2
	v_fma_f32 v1, -0.5, v1, v17
	v_fma_f32 v0, -0.5, v3, v16
	v_add_f32_e32 v3, v6, v9
	v_fmamk_f32 v5, v4, 0x3f5db3d7, v1
	v_fmac_f32_e32 v1, 0xbf5db3d7, v4
	v_fmamk_f32 v4, v8, 0xbf5db3d7, v0
	v_fmac_f32_e32 v0, 0x3f5db3d7, v8
	ds_write2_b64 v28, v[2:3], v[0:1] offset0:42 offset1:91
	ds_write_b64 v28, v[4:5] offset:1120
.LBB0_16:
	s_or_b32 exec_lo, exec_lo, s1
	s_waitcnt lgkmcnt(0)
	s_barrier
	buffer_gl0_inv
	s_and_saveexec_b32 s0, vcc_lo
	s_cbranch_execz .LBB0_18
; %bb.17:
	v_mad_u64_u32 v[4:5], null, s2, v24, 0
	v_mul_lo_u32 v3, s5, v14
	v_mul_lo_u32 v8, s4, v15
	v_add_nc_u32_e32 v15, 21, v24
	v_mad_u64_u32 v[0:1], null, s4, v14, 0
	v_lshl_add_u32 v22, v24, 3, v26
	v_mov_b32_e32 v2, v5
	v_mad_u64_u32 v[6:7], null, s2, v15, 0
	v_add_nc_u32_e32 v16, 0x69, v24
	v_add_nc_u32_e32 v20, 0x7e, v24
	v_add3_u32 v1, v1, v8, v3
	v_mad_u64_u32 v[8:9], null, s3, v24, v[2:3]
	v_lshlrev_b64 v[9:10], 3, v[12:13]
	v_mov_b32_e32 v5, v7
	v_lshlrev_b64 v[11:12], 3, v[0:1]
	ds_read2_b64 v[0:3], v22 offset1:21
	v_mad_u64_u32 v[13:14], null, s3, v15, v[5:6]
	v_mov_b32_e32 v5, v8
	v_add_co_u32 v7, vcc_lo, s10, v11
	v_add_co_ci_u32_e32 v8, vcc_lo, s11, v12, vcc_lo
	v_lshlrev_b64 v[4:5], 3, v[4:5]
	v_add_co_u32 v23, vcc_lo, v7, v9
	v_add_co_ci_u32_e32 v25, vcc_lo, v8, v10, vcc_lo
	v_mov_b32_e32 v7, v13
	v_add_co_u32 v4, vcc_lo, v23, v4
	v_add_co_ci_u32_e32 v5, vcc_lo, v25, v5, vcc_lo
	v_add_nc_u32_e32 v10, 42, v24
	v_add_nc_u32_e32 v12, 63, v24
	v_add_nc_u32_e32 v14, 0x54, v24
	s_waitcnt lgkmcnt(0)
	global_store_dwordx2 v[4:5], v[0:1], off
	v_lshlrev_b64 v[0:1], 3, v[6:7]
	v_mad_u64_u32 v[4:5], null, s2, v10, 0
	v_mad_u64_u32 v[6:7], null, s2, v12, 0
	;; [unrolled: 1-line block ×3, first 2 shown]
	v_add_co_u32 v0, vcc_lo, v23, v0
	v_add_co_ci_u32_e32 v1, vcc_lo, v25, v1, vcc_lo
	v_mad_u64_u32 v[10:11], null, s3, v10, v[5:6]
	v_mad_u64_u32 v[11:12], null, s3, v12, v[7:8]
	;; [unrolled: 1-line block ×3, first 2 shown]
	global_store_dwordx2 v[0:1], v[2:3], off
	v_mov_b32_e32 v0, v9
	v_mov_b32_e32 v5, v10
	;; [unrolled: 1-line block ×3, first 2 shown]
	v_mad_u64_u32 v[9:10], null, s3, v14, v[0:1]
	v_mad_u64_u32 v[14:15], null, s2, v20, 0
	v_mov_b32_e32 v10, v13
	v_lshlrev_b64 v[4:5], 3, v[4:5]
	v_lshlrev_b64 v[18:19], 3, v[6:7]
	ds_read2_b64 v[0:3], v22 offset0:42 offset1:63
	v_lshlrev_b64 v[8:9], 3, v[8:9]
	v_mad_u64_u32 v[10:11], null, s3, v16, v[10:11]
	v_mov_b32_e32 v11, v15
	v_add_co_u32 v16, vcc_lo, v23, v4
	v_add_co_ci_u32_e32 v17, vcc_lo, v25, v5, vcc_lo
	v_mad_u64_u32 v[20:21], null, s3, v20, v[11:12]
	ds_read2_b64 v[4:7], v22 offset0:84 offset1:105
	v_mov_b32_e32 v13, v10
	v_add_co_u32 v10, vcc_lo, v23, v18
	v_add_co_ci_u32_e32 v11, vcc_lo, v25, v19, vcc_lo
	ds_read_b64 v[18:19], v22 offset:1008
	v_mov_b32_e32 v15, v20
	v_lshlrev_b64 v[12:13], 3, v[12:13]
	v_add_co_u32 v8, vcc_lo, v23, v8
	v_add_co_ci_u32_e32 v9, vcc_lo, v25, v9, vcc_lo
	v_lshlrev_b64 v[14:15], 3, v[14:15]
	v_add_co_u32 v12, vcc_lo, v23, v12
	v_add_co_ci_u32_e32 v13, vcc_lo, v25, v13, vcc_lo
	v_add_co_u32 v14, vcc_lo, v23, v14
	v_add_co_ci_u32_e32 v15, vcc_lo, v25, v15, vcc_lo
	s_waitcnt lgkmcnt(2)
	global_store_dwordx2 v[16:17], v[0:1], off
	global_store_dwordx2 v[10:11], v[2:3], off
	s_waitcnt lgkmcnt(1)
	global_store_dwordx2 v[8:9], v[4:5], off
	global_store_dwordx2 v[12:13], v[6:7], off
	s_waitcnt lgkmcnt(0)
	global_store_dwordx2 v[14:15], v[18:19], off
.LBB0_18:
	s_endpgm
	.section	.rodata,"a",@progbits
	.p2align	6, 0x0
	.amdhsa_kernel fft_rtc_fwd_len147_factors_7_7_3_wgs_63_tpt_21_sp_op_CI_CI_sbrr_dirReg
		.amdhsa_group_segment_fixed_size 0
		.amdhsa_private_segment_fixed_size 0
		.amdhsa_kernarg_size 104
		.amdhsa_user_sgpr_count 6
		.amdhsa_user_sgpr_private_segment_buffer 1
		.amdhsa_user_sgpr_dispatch_ptr 0
		.amdhsa_user_sgpr_queue_ptr 0
		.amdhsa_user_sgpr_kernarg_segment_ptr 1
		.amdhsa_user_sgpr_dispatch_id 0
		.amdhsa_user_sgpr_flat_scratch_init 0
		.amdhsa_user_sgpr_private_segment_size 0
		.amdhsa_wavefront_size32 1
		.amdhsa_uses_dynamic_stack 0
		.amdhsa_system_sgpr_private_segment_wavefront_offset 0
		.amdhsa_system_sgpr_workgroup_id_x 1
		.amdhsa_system_sgpr_workgroup_id_y 0
		.amdhsa_system_sgpr_workgroup_id_z 0
		.amdhsa_system_sgpr_workgroup_info 0
		.amdhsa_system_vgpr_workitem_id 0
		.amdhsa_next_free_vgpr 45
		.amdhsa_next_free_sgpr 31
		.amdhsa_reserve_vcc 1
		.amdhsa_reserve_flat_scratch 0
		.amdhsa_float_round_mode_32 0
		.amdhsa_float_round_mode_16_64 0
		.amdhsa_float_denorm_mode_32 3
		.amdhsa_float_denorm_mode_16_64 3
		.amdhsa_dx10_clamp 1
		.amdhsa_ieee_mode 1
		.amdhsa_fp16_overflow 0
		.amdhsa_workgroup_processor_mode 1
		.amdhsa_memory_ordered 1
		.amdhsa_forward_progress 0
		.amdhsa_shared_vgpr_count 0
		.amdhsa_exception_fp_ieee_invalid_op 0
		.amdhsa_exception_fp_denorm_src 0
		.amdhsa_exception_fp_ieee_div_zero 0
		.amdhsa_exception_fp_ieee_overflow 0
		.amdhsa_exception_fp_ieee_underflow 0
		.amdhsa_exception_fp_ieee_inexact 0
		.amdhsa_exception_int_div_zero 0
	.end_amdhsa_kernel
	.text
.Lfunc_end0:
	.size	fft_rtc_fwd_len147_factors_7_7_3_wgs_63_tpt_21_sp_op_CI_CI_sbrr_dirReg, .Lfunc_end0-fft_rtc_fwd_len147_factors_7_7_3_wgs_63_tpt_21_sp_op_CI_CI_sbrr_dirReg
                                        ; -- End function
	.section	.AMDGPU.csdata,"",@progbits
; Kernel info:
; codeLenInByte = 4520
; NumSgprs: 33
; NumVgprs: 45
; ScratchSize: 0
; MemoryBound: 0
; FloatMode: 240
; IeeeMode: 1
; LDSByteSize: 0 bytes/workgroup (compile time only)
; SGPRBlocks: 4
; VGPRBlocks: 5
; NumSGPRsForWavesPerEU: 33
; NumVGPRsForWavesPerEU: 45
; Occupancy: 16
; WaveLimiterHint : 1
; COMPUTE_PGM_RSRC2:SCRATCH_EN: 0
; COMPUTE_PGM_RSRC2:USER_SGPR: 6
; COMPUTE_PGM_RSRC2:TRAP_HANDLER: 0
; COMPUTE_PGM_RSRC2:TGID_X_EN: 1
; COMPUTE_PGM_RSRC2:TGID_Y_EN: 0
; COMPUTE_PGM_RSRC2:TGID_Z_EN: 0
; COMPUTE_PGM_RSRC2:TIDIG_COMP_CNT: 0
	.text
	.p2alignl 6, 3214868480
	.fill 48, 4, 3214868480
	.type	__hip_cuid_d1c0e52493d19abd,@object ; @__hip_cuid_d1c0e52493d19abd
	.section	.bss,"aw",@nobits
	.globl	__hip_cuid_d1c0e52493d19abd
__hip_cuid_d1c0e52493d19abd:
	.byte	0                               ; 0x0
	.size	__hip_cuid_d1c0e52493d19abd, 1

	.ident	"AMD clang version 19.0.0git (https://github.com/RadeonOpenCompute/llvm-project roc-6.4.0 25133 c7fe45cf4b819c5991fe208aaa96edf142730f1d)"
	.section	".note.GNU-stack","",@progbits
	.addrsig
	.addrsig_sym __hip_cuid_d1c0e52493d19abd
	.amdgpu_metadata
---
amdhsa.kernels:
  - .args:
      - .actual_access:  read_only
        .address_space:  global
        .offset:         0
        .size:           8
        .value_kind:     global_buffer
      - .offset:         8
        .size:           8
        .value_kind:     by_value
      - .actual_access:  read_only
        .address_space:  global
        .offset:         16
        .size:           8
        .value_kind:     global_buffer
      - .actual_access:  read_only
        .address_space:  global
        .offset:         24
        .size:           8
        .value_kind:     global_buffer
      - .actual_access:  read_only
        .address_space:  global
        .offset:         32
        .size:           8
        .value_kind:     global_buffer
      - .offset:         40
        .size:           8
        .value_kind:     by_value
      - .actual_access:  read_only
        .address_space:  global
        .offset:         48
        .size:           8
        .value_kind:     global_buffer
      - .actual_access:  read_only
        .address_space:  global
        .offset:         56
        .size:           8
        .value_kind:     global_buffer
      - .offset:         64
        .size:           4
        .value_kind:     by_value
      - .actual_access:  read_only
        .address_space:  global
        .offset:         72
        .size:           8
        .value_kind:     global_buffer
      - .actual_access:  read_only
        .address_space:  global
        .offset:         80
        .size:           8
        .value_kind:     global_buffer
      - .actual_access:  read_only
        .address_space:  global
        .offset:         88
        .size:           8
        .value_kind:     global_buffer
      - .actual_access:  write_only
        .address_space:  global
        .offset:         96
        .size:           8
        .value_kind:     global_buffer
    .group_segment_fixed_size: 0
    .kernarg_segment_align: 8
    .kernarg_segment_size: 104
    .language:       OpenCL C
    .language_version:
      - 2
      - 0
    .max_flat_workgroup_size: 63
    .name:           fft_rtc_fwd_len147_factors_7_7_3_wgs_63_tpt_21_sp_op_CI_CI_sbrr_dirReg
    .private_segment_fixed_size: 0
    .sgpr_count:     33
    .sgpr_spill_count: 0
    .symbol:         fft_rtc_fwd_len147_factors_7_7_3_wgs_63_tpt_21_sp_op_CI_CI_sbrr_dirReg.kd
    .uniform_work_group_size: 1
    .uses_dynamic_stack: false
    .vgpr_count:     45
    .vgpr_spill_count: 0
    .wavefront_size: 32
    .workgroup_processor_mode: 1
amdhsa.target:   amdgcn-amd-amdhsa--gfx1030
amdhsa.version:
  - 1
  - 2
...

	.end_amdgpu_metadata
